;; amdgpu-corpus repo=ROCm/rocFFT kind=compiled arch=gfx906 opt=O3
	.text
	.amdgcn_target "amdgcn-amd-amdhsa--gfx906"
	.amdhsa_code_object_version 6
	.protected	fft_rtc_fwd_len24_factors_8_3_wgs_256_tpt_8_halfLds_dp_op_CI_CI_sbrr_dirReg ; -- Begin function fft_rtc_fwd_len24_factors_8_3_wgs_256_tpt_8_halfLds_dp_op_CI_CI_sbrr_dirReg
	.globl	fft_rtc_fwd_len24_factors_8_3_wgs_256_tpt_8_halfLds_dp_op_CI_CI_sbrr_dirReg
	.p2align	8
	.type	fft_rtc_fwd_len24_factors_8_3_wgs_256_tpt_8_halfLds_dp_op_CI_CI_sbrr_dirReg,@function
fft_rtc_fwd_len24_factors_8_3_wgs_256_tpt_8_halfLds_dp_op_CI_CI_sbrr_dirReg: ; @fft_rtc_fwd_len24_factors_8_3_wgs_256_tpt_8_halfLds_dp_op_CI_CI_sbrr_dirReg
; %bb.0:
	s_load_dwordx4 s[16:19], s[4:5], 0x18
	s_load_dwordx4 s[12:15], s[4:5], 0x0
	;; [unrolled: 1-line block ×3, first 2 shown]
	v_lshrrev_b32_e32 v41, 3, v0
	v_mov_b32_e32 v1, 0
	s_waitcnt lgkmcnt(0)
	s_load_dwordx2 s[20:21], s[16:17], 0x0
	s_load_dwordx2 s[2:3], s[18:19], 0x0
	v_cmp_lt_u64_e64 s[0:1], s[14:15], 2
	v_mov_b32_e32 v37, 0
	v_lshl_or_b32 v3, s6, 5, v41
	v_mov_b32_e32 v4, v1
	s_and_b64 vcc, exec, s[0:1]
	v_mov_b32_e32 v38, 0
	s_cbranch_vccnz .LBB0_8
; %bb.1:
	s_load_dwordx2 s[0:1], s[4:5], 0x10
	s_add_u32 s6, s18, 8
	s_addc_u32 s7, s19, 0
	s_add_u32 s22, s16, 8
	s_addc_u32 s23, s17, 0
	v_mov_b32_e32 v37, 0
	s_waitcnt lgkmcnt(0)
	s_add_u32 s24, s0, 8
	v_mov_b32_e32 v38, 0
	v_mov_b32_e32 v33, v37
	s_addc_u32 s25, s1, 0
	s_mov_b64 s[26:27], 1
	v_mov_b32_e32 v34, v38
.LBB0_2:                                ; =>This Inner Loop Header: Depth=1
	s_load_dwordx2 s[28:29], s[24:25], 0x0
                                        ; implicit-def: $vgpr35_vgpr36
	s_waitcnt lgkmcnt(0)
	v_or_b32_e32 v2, s29, v4
	v_cmp_ne_u64_e32 vcc, 0, v[1:2]
	s_and_saveexec_b64 s[0:1], vcc
	s_xor_b64 s[30:31], exec, s[0:1]
	s_cbranch_execz .LBB0_4
; %bb.3:                                ;   in Loop: Header=BB0_2 Depth=1
	v_cvt_f32_u32_e32 v2, s28
	v_cvt_f32_u32_e32 v5, s29
	s_sub_u32 s0, 0, s28
	s_subb_u32 s1, 0, s29
	v_mac_f32_e32 v2, 0x4f800000, v5
	v_rcp_f32_e32 v2, v2
	v_mul_f32_e32 v2, 0x5f7ffffc, v2
	v_mul_f32_e32 v5, 0x2f800000, v2
	v_trunc_f32_e32 v5, v5
	v_mac_f32_e32 v2, 0xcf800000, v5
	v_cvt_u32_f32_e32 v5, v5
	v_cvt_u32_f32_e32 v2, v2
	v_mul_lo_u32 v6, s0, v5
	v_mul_hi_u32 v7, s0, v2
	v_mul_lo_u32 v9, s1, v2
	v_mul_lo_u32 v8, s0, v2
	v_add_u32_e32 v6, v7, v6
	v_add_u32_e32 v6, v6, v9
	v_mul_hi_u32 v7, v2, v8
	v_mul_lo_u32 v9, v2, v6
	v_mul_hi_u32 v11, v2, v6
	v_mul_hi_u32 v10, v5, v8
	v_mul_lo_u32 v8, v5, v8
	v_mul_hi_u32 v12, v5, v6
	v_add_co_u32_e32 v7, vcc, v7, v9
	v_addc_co_u32_e32 v9, vcc, 0, v11, vcc
	v_mul_lo_u32 v6, v5, v6
	v_add_co_u32_e32 v7, vcc, v7, v8
	v_addc_co_u32_e32 v7, vcc, v9, v10, vcc
	v_addc_co_u32_e32 v8, vcc, 0, v12, vcc
	v_add_co_u32_e32 v6, vcc, v7, v6
	v_addc_co_u32_e32 v7, vcc, 0, v8, vcc
	v_add_co_u32_e32 v2, vcc, v2, v6
	v_addc_co_u32_e32 v5, vcc, v5, v7, vcc
	v_mul_lo_u32 v6, s0, v5
	v_mul_hi_u32 v7, s0, v2
	v_mul_lo_u32 v8, s1, v2
	v_mul_lo_u32 v9, s0, v2
	v_add_u32_e32 v6, v7, v6
	v_add_u32_e32 v6, v6, v8
	v_mul_lo_u32 v10, v2, v6
	v_mul_hi_u32 v11, v2, v9
	v_mul_hi_u32 v12, v2, v6
	;; [unrolled: 1-line block ×3, first 2 shown]
	v_mul_lo_u32 v9, v5, v9
	v_mul_hi_u32 v7, v5, v6
	v_add_co_u32_e32 v10, vcc, v11, v10
	v_addc_co_u32_e32 v11, vcc, 0, v12, vcc
	v_mul_lo_u32 v6, v5, v6
	v_add_co_u32_e32 v9, vcc, v10, v9
	v_addc_co_u32_e32 v8, vcc, v11, v8, vcc
	v_addc_co_u32_e32 v7, vcc, 0, v7, vcc
	v_add_co_u32_e32 v6, vcc, v8, v6
	v_addc_co_u32_e32 v7, vcc, 0, v7, vcc
	v_add_co_u32_e32 v2, vcc, v2, v6
	v_addc_co_u32_e32 v7, vcc, v5, v7, vcc
	v_mad_u64_u32 v[5:6], s[0:1], v3, v7, 0
	v_mul_hi_u32 v8, v3, v2
	v_add_co_u32_e32 v9, vcc, v8, v5
	v_addc_co_u32_e32 v10, vcc, 0, v6, vcc
	v_mad_u64_u32 v[5:6], s[0:1], v4, v2, 0
	v_mad_u64_u32 v[7:8], s[0:1], v4, v7, 0
	v_add_co_u32_e32 v2, vcc, v9, v5
	v_addc_co_u32_e32 v2, vcc, v10, v6, vcc
	v_addc_co_u32_e32 v5, vcc, 0, v8, vcc
	v_add_co_u32_e32 v2, vcc, v2, v7
	v_addc_co_u32_e32 v7, vcc, 0, v5, vcc
	v_mul_lo_u32 v8, s29, v2
	v_mul_lo_u32 v9, s28, v7
	v_mad_u64_u32 v[5:6], s[0:1], s28, v2, 0
	v_add3_u32 v6, v6, v9, v8
	v_sub_u32_e32 v8, v4, v6
	v_mov_b32_e32 v9, s29
	v_sub_co_u32_e32 v5, vcc, v3, v5
	v_subb_co_u32_e64 v8, s[0:1], v8, v9, vcc
	v_subrev_co_u32_e64 v9, s[0:1], s28, v5
	v_subbrev_co_u32_e64 v8, s[0:1], 0, v8, s[0:1]
	v_cmp_le_u32_e64 s[0:1], s29, v8
	v_cndmask_b32_e64 v10, 0, -1, s[0:1]
	v_cmp_le_u32_e64 s[0:1], s28, v9
	v_cndmask_b32_e64 v9, 0, -1, s[0:1]
	v_cmp_eq_u32_e64 s[0:1], s29, v8
	v_cndmask_b32_e64 v8, v10, v9, s[0:1]
	v_add_co_u32_e64 v9, s[0:1], 2, v2
	v_addc_co_u32_e64 v10, s[0:1], 0, v7, s[0:1]
	v_add_co_u32_e64 v11, s[0:1], 1, v2
	v_addc_co_u32_e64 v12, s[0:1], 0, v7, s[0:1]
	v_subb_co_u32_e32 v6, vcc, v4, v6, vcc
	v_cmp_ne_u32_e64 s[0:1], 0, v8
	v_cmp_le_u32_e32 vcc, s29, v6
	v_cndmask_b32_e64 v8, v12, v10, s[0:1]
	v_cndmask_b32_e64 v10, 0, -1, vcc
	v_cmp_le_u32_e32 vcc, s28, v5
	v_cndmask_b32_e64 v5, 0, -1, vcc
	v_cmp_eq_u32_e32 vcc, s29, v6
	v_cndmask_b32_e32 v5, v10, v5, vcc
	v_cmp_ne_u32_e32 vcc, 0, v5
	v_cndmask_b32_e64 v5, v11, v9, s[0:1]
	v_cndmask_b32_e32 v36, v7, v8, vcc
	v_cndmask_b32_e32 v35, v2, v5, vcc
.LBB0_4:                                ;   in Loop: Header=BB0_2 Depth=1
	s_andn2_saveexec_b64 s[0:1], s[30:31]
	s_cbranch_execz .LBB0_6
; %bb.5:                                ;   in Loop: Header=BB0_2 Depth=1
	v_cvt_f32_u32_e32 v2, s28
	s_sub_i32 s30, 0, s28
	v_mov_b32_e32 v36, v1
	v_rcp_iflag_f32_e32 v2, v2
	v_mul_f32_e32 v2, 0x4f7ffffe, v2
	v_cvt_u32_f32_e32 v2, v2
	v_mul_lo_u32 v5, s30, v2
	v_mul_hi_u32 v5, v2, v5
	v_add_u32_e32 v2, v2, v5
	v_mul_hi_u32 v2, v3, v2
	v_mul_lo_u32 v5, v2, s28
	v_add_u32_e32 v6, 1, v2
	v_sub_u32_e32 v5, v3, v5
	v_subrev_u32_e32 v7, s28, v5
	v_cmp_le_u32_e32 vcc, s28, v5
	v_cndmask_b32_e32 v5, v5, v7, vcc
	v_cndmask_b32_e32 v2, v2, v6, vcc
	v_add_u32_e32 v6, 1, v2
	v_cmp_le_u32_e32 vcc, s28, v5
	v_cndmask_b32_e32 v35, v2, v6, vcc
.LBB0_6:                                ;   in Loop: Header=BB0_2 Depth=1
	s_or_b64 exec, exec, s[0:1]
	v_mul_lo_u32 v2, v36, s28
	v_mul_lo_u32 v7, v35, s29
	v_mad_u64_u32 v[5:6], s[0:1], v35, s28, 0
	s_load_dwordx2 s[0:1], s[22:23], 0x0
	s_load_dwordx2 s[28:29], s[6:7], 0x0
	v_add3_u32 v2, v6, v7, v2
	v_sub_co_u32_e32 v3, vcc, v3, v5
	v_subb_co_u32_e32 v2, vcc, v4, v2, vcc
	s_waitcnt lgkmcnt(0)
	v_mul_lo_u32 v4, s0, v2
	v_mul_lo_u32 v5, s1, v3
	v_mad_u64_u32 v[37:38], s[0:1], s0, v3, v[37:38]
	v_mul_lo_u32 v2, s28, v2
	v_mul_lo_u32 v6, s29, v3
	v_mad_u64_u32 v[33:34], s[0:1], s28, v3, v[33:34]
	s_add_u32 s26, s26, 1
	s_addc_u32 s27, s27, 0
	s_add_u32 s6, s6, 8
	v_add3_u32 v34, v6, v34, v2
	s_addc_u32 s7, s7, 0
	v_mov_b32_e32 v2, s14
	s_add_u32 s22, s22, 8
	v_mov_b32_e32 v3, s15
	s_addc_u32 s23, s23, 0
	v_cmp_ge_u64_e32 vcc, s[26:27], v[2:3]
	s_add_u32 s24, s24, 8
	v_add3_u32 v38, v5, v38, v4
	s_addc_u32 s25, s25, 0
	s_cbranch_vccnz .LBB0_9
; %bb.7:                                ;   in Loop: Header=BB0_2 Depth=1
	v_mov_b32_e32 v3, v35
	v_mov_b32_e32 v4, v36
	s_branch .LBB0_2
.LBB0_8:
	v_mov_b32_e32 v33, v37
	v_mov_b32_e32 v36, v4
	;; [unrolled: 1-line block ×4, first 2 shown]
.LBB0_9:
	s_lshl_b64 s[22:23], s[14:15], 3
	s_load_dwordx2 s[0:1], s[4:5], 0x28
	s_add_u32 s4, s18, s22
	s_addc_u32 s5, s19, s23
	s_load_dwordx2 s[4:5], s[4:5], 0x0
	v_and_b32_e32 v42, 7, v0
	s_waitcnt lgkmcnt(0)
	v_cmp_gt_u64_e32 vcc, s[0:1], v[35:36]
	v_mov_b32_e32 v43, 0
                                        ; implicit-def: $vgpr19_vgpr20
                                        ; implicit-def: $vgpr23_vgpr24
                                        ; implicit-def: $vgpr11_vgpr12
                                        ; implicit-def: $vgpr15_vgpr16
                                        ; implicit-def: $vgpr27_vgpr28
                                        ; implicit-def: $vgpr31_vgpr32
                                        ; implicit-def: $vgpr7_vgpr8
                                        ; implicit-def: $vgpr3_vgpr4
	s_and_saveexec_b64 s[6:7], vcc
	s_cbranch_execz .LBB0_13
; %bb.10:
	v_cmp_gt_u32_e64 s[0:1], 3, v42
                                        ; implicit-def: $vgpr1_vgpr2
                                        ; implicit-def: $vgpr5_vgpr6
                                        ; implicit-def: $vgpr29_vgpr30
                                        ; implicit-def: $vgpr25_vgpr26
                                        ; implicit-def: $vgpr13_vgpr14
                                        ; implicit-def: $vgpr9_vgpr10
                                        ; implicit-def: $vgpr21_vgpr22
                                        ; implicit-def: $vgpr17_vgpr18
	s_and_saveexec_b64 s[14:15], s[0:1]
	s_cbranch_execz .LBB0_12
; %bb.11:
	s_add_u32 s0, s16, s22
	s_addc_u32 s1, s17, s23
	s_load_dwordx2 s[0:1], s[0:1], 0x0
	v_mad_u64_u32 v[1:2], s[16:17], s20, v42, 0
	v_add_u32_e32 v9, 3, v42
	s_waitcnt lgkmcnt(0)
	v_mul_lo_u32 v7, s1, v35
	v_mul_lo_u32 v8, s0, v36
	v_mad_u64_u32 v[3:4], s[0:1], s0, v35, 0
	v_mad_u64_u32 v[5:6], s[0:1], s21, v42, v[2:3]
	v_add3_u32 v4, v4, v8, v7
	v_lshlrev_b64 v[3:4], 4, v[3:4]
	v_mov_b32_e32 v2, v5
	v_mov_b32_e32 v5, s9
	v_add_co_u32_e64 v7, s[0:1], s8, v3
	v_addc_co_u32_e64 v8, s[0:1], v5, v4, s[0:1]
	v_mad_u64_u32 v[5:6], s[0:1], s20, v9, 0
	v_lshlrev_b64 v[3:4], 4, v[37:38]
	v_lshlrev_b64 v[1:2], 4, v[1:2]
	v_add_co_u32_e64 v10, s[0:1], v7, v3
	v_mov_b32_e32 v3, v6
	v_addc_co_u32_e64 v11, s[0:1], v8, v4, s[0:1]
	v_mad_u64_u32 v[3:4], s[0:1], s21, v9, v[3:4]
	v_add_u32_e32 v4, 6, v42
	v_mad_u64_u32 v[7:8], s[0:1], s20, v4, 0
	v_add_co_u32_e64 v37, s[0:1], v10, v1
	v_mov_b32_e32 v6, v3
	v_mov_b32_e32 v3, v8
	v_addc_co_u32_e64 v38, s[0:1], v11, v2, s[0:1]
	v_lshlrev_b64 v[1:2], 4, v[5:6]
	v_mad_u64_u32 v[3:4], s[0:1], s21, v4, v[3:4]
	v_add_u32_e32 v6, 9, v42
	v_mad_u64_u32 v[4:5], s[0:1], s20, v6, 0
	v_add_co_u32_e64 v39, s[0:1], v10, v1
	v_mov_b32_e32 v8, v3
	v_mov_b32_e32 v3, v5
	v_addc_co_u32_e64 v40, s[0:1], v11, v2, s[0:1]
	v_lshlrev_b64 v[1:2], 4, v[7:8]
	v_mad_u64_u32 v[5:6], s[0:1], s21, v6, v[3:4]
	v_or_b32_e32 v8, 12, v42
	v_mad_u64_u32 v[6:7], s[0:1], s20, v8, 0
	v_add_co_u32_e64 v43, s[0:1], v10, v1
	v_mov_b32_e32 v3, v7
	v_addc_co_u32_e64 v44, s[0:1], v11, v2, s[0:1]
	v_lshlrev_b64 v[1:2], 4, v[4:5]
	v_mad_u64_u32 v[3:4], s[0:1], s21, v8, v[3:4]
	v_add_u32_e32 v8, 15, v42
	v_mad_u64_u32 v[4:5], s[0:1], s20, v8, 0
	v_add_co_u32_e64 v45, s[0:1], v10, v1
	v_mov_b32_e32 v7, v3
	v_mov_b32_e32 v3, v5
	v_addc_co_u32_e64 v46, s[0:1], v11, v2, s[0:1]
	v_lshlrev_b64 v[1:2], 4, v[6:7]
	v_mad_u64_u32 v[5:6], s[0:1], s21, v8, v[3:4]
	v_add_u32_e32 v8, 18, v42
	v_mad_u64_u32 v[6:7], s[0:1], s20, v8, 0
	v_add_co_u32_e64 v47, s[0:1], v10, v1
	v_mov_b32_e32 v3, v7
	v_addc_co_u32_e64 v48, s[0:1], v11, v2, s[0:1]
	v_lshlrev_b64 v[1:2], 4, v[4:5]
	v_mad_u64_u32 v[3:4], s[0:1], s21, v8, v[3:4]
	v_add_u32_e32 v8, 21, v42
	v_mad_u64_u32 v[4:5], s[0:1], s20, v8, 0
	v_add_co_u32_e64 v49, s[0:1], v10, v1
	v_mov_b32_e32 v7, v3
	v_mov_b32_e32 v3, v5
	v_addc_co_u32_e64 v50, s[0:1], v11, v2, s[0:1]
	v_lshlrev_b64 v[1:2], 4, v[6:7]
	v_mad_u64_u32 v[5:6], s[0:1], s21, v8, v[3:4]
	v_add_co_u32_e64 v51, s[0:1], v10, v1
	v_addc_co_u32_e64 v52, s[0:1], v11, v2, s[0:1]
	v_lshlrev_b64 v[1:2], 4, v[4:5]
	v_add_co_u32_e64 v53, s[0:1], v10, v1
	v_addc_co_u32_e64 v54, s[0:1], v11, v2, s[0:1]
	global_load_dwordx4 v[1:4], v[37:38], off
	global_load_dwordx4 v[17:20], v[39:40], off
	;; [unrolled: 1-line block ×8, first 2 shown]
.LBB0_12:
	s_or_b64 exec, exec, s[14:15]
	v_mov_b32_e32 v43, v42
.LBB0_13:
	s_or_b64 exec, exec, s[6:7]
	s_waitcnt vmcnt(2)
	v_add_f64 v[37:38], v[17:18], -v[29:30]
	v_add_f64 v[31:32], v[19:20], -v[31:32]
	s_waitcnt vmcnt(0)
	v_add_f64 v[29:30], v[23:24], -v[27:28]
	v_add_f64 v[25:26], v[21:22], -v[25:26]
	s_mov_b32 s0, 0x667f3bcd
	s_mov_b32 s1, 0x3fe6a09e
	v_fma_f64 v[39:40], v[17:18], 2.0, -v[37:38]
	v_fma_f64 v[27:28], v[19:20], 2.0, -v[31:32]
	v_add_f64 v[44:45], v[37:38], -v[29:30]
	v_add_f64 v[46:47], v[25:26], v[31:32]
	v_fma_f64 v[17:18], v[21:22], 2.0, -v[25:26]
	v_fma_f64 v[19:20], v[23:24], 2.0, -v[29:30]
	v_add_f64 v[29:30], v[5:6], -v[13:14]
	v_fma_f64 v[13:14], v[37:38], 2.0, -v[44:45]
	v_fma_f64 v[23:24], v[31:32], 2.0, -v[46:47]
	v_add_f64 v[37:38], v[7:8], -v[15:16]
	v_add_f64 v[17:18], v[39:40], -v[17:18]
	;; [unrolled: 1-line block ×3, first 2 shown]
	v_mul_f64 v[21:22], v[44:45], s[0:1]
	v_mul_f64 v[25:26], v[46:47], s[0:1]
	;; [unrolled: 1-line block ×4, first 2 shown]
	v_mul_u32_u24_e32 v13, 24, v41
	v_cmp_gt_u32_e64 s[0:1], 3, v42
	v_lshlrev_b32_e32 v41, 3, v13
	s_and_saveexec_b64 s[6:7], s[0:1]
	s_cbranch_execz .LBB0_15
; %bb.14:
	v_add_f64 v[9:10], v[1:2], -v[9:10]
	v_fma_f64 v[5:6], v[5:6], 2.0, -v[29:30]
	v_fma_f64 v[39:40], v[39:40], 2.0, -v[17:18]
	v_add_f64 v[48:49], v[9:10], -v[37:38]
	v_fma_f64 v[1:2], v[1:2], 2.0, -v[9:10]
	v_fma_f64 v[9:10], v[9:10], 2.0, -v[48:49]
	v_add_f64 v[5:6], v[1:2], -v[5:6]
	v_add_f64 v[13:14], v[21:22], v[48:49]
	v_add_f64 v[44:45], v[9:10], -v[19:20]
	v_fma_f64 v[1:2], v[1:2], 2.0, -v[5:6]
	v_add_f64 v[15:16], v[13:14], -v[25:26]
	v_add_f64 v[13:14], v[5:6], -v[31:32]
	;; [unrolled: 1-line block ×4, first 2 shown]
	v_fma_f64 v[50:51], v[48:49], 2.0, -v[15:16]
	v_fma_f64 v[48:49], v[5:6], 2.0, -v[13:14]
	;; [unrolled: 1-line block ×4, first 2 shown]
	v_lshlrev_b32_e32 v1, 6, v42
	v_add3_u32 v1, 0, v1, v41
	ds_write_b128 v1, v[48:51] offset:16
	ds_write_b128 v1, v[44:47] offset:32
	ds_write_b128 v1, v[52:55]
	ds_write_b128 v1, v[13:16] offset:48
.LBB0_15:
	s_or_b64 exec, exec, s[6:7]
	v_lshlrev_b32_e32 v6, 3, v42
	v_add_u32_e32 v9, 0, v6
	v_add3_u32 v5, 0, v41, v6
	v_add_u32_e32 v6, v9, v41
	s_waitcnt lgkmcnt(0)
	s_barrier
	ds_read_b64 v[1:2], v5
	ds_read2_b64 v[13:16], v6 offset0:8 offset1:16
	s_waitcnt lgkmcnt(0)
	s_barrier
	s_and_saveexec_b64 s[6:7], s[0:1]
	s_cbranch_execz .LBB0_17
; %bb.16:
	v_add_f64 v[10:11], v[3:4], -v[11:12]
	v_fma_f64 v[7:8], v[7:8], 2.0, -v[37:38]
	v_fma_f64 v[27:28], v[27:28], 2.0, -v[31:32]
	;; [unrolled: 1-line block ×3, first 2 shown]
	v_add_f64 v[29:30], v[29:30], v[10:11]
	v_add_f64 v[7:8], v[3:4], -v[7:8]
	v_fma_f64 v[10:11], v[10:11], 2.0, -v[29:30]
	v_add_f64 v[25:26], v[25:26], v[29:30]
	v_fma_f64 v[3:4], v[3:4], 2.0, -v[7:8]
	v_add_f64 v[31:32], v[10:11], -v[23:24]
	v_add_f64 v[23:24], v[17:18], v[7:8]
	v_add_f64 v[25:26], v[21:22], v[25:26]
	v_add_f64 v[17:18], v[3:4], -v[27:28]
	v_add_f64 v[19:20], v[19:20], v[31:32]
	v_fma_f64 v[27:28], v[7:8], 2.0, -v[23:24]
	v_fma_f64 v[29:30], v[29:30], 2.0, -v[25:26]
	;; [unrolled: 1-line block ×4, first 2 shown]
	v_mul_u32_u24_e32 v3, 56, v42
	v_add3_u32 v3, v9, v3, v41
	ds_write_b128 v3, v[27:30] offset:16
	ds_write_b128 v3, v[17:20] offset:32
	ds_write_b128 v3, v[37:40]
	ds_write_b128 v3, v[23:26] offset:48
.LBB0_17:
	s_or_b64 exec, exec, s[6:7]
	s_waitcnt lgkmcnt(0)
	s_barrier
	s_and_saveexec_b64 s[0:1], vcc
	s_cbranch_execz .LBB0_19
; %bb.18:
	v_lshlrev_b32_e32 v0, 5, v0
	v_and_b32_e32 v0, 0xe0, v0
	global_load_dwordx4 v[7:10], v0, s[12:13]
	global_load_dwordx4 v[17:20], v0, s[12:13] offset:16
	v_mul_lo_u32 v0, s5, v35
	v_mul_lo_u32 v31, s4, v36
	v_mad_u64_u32 v[3:4], s[0:1], s4, v35, 0
	v_mad_u64_u32 v[11:12], s[6:7], s2, v43, 0
	v_lshlrev_b64 v[25:26], 4, v[33:34]
	v_or_b32_e32 v33, 8, v43
	v_or_b32_e32 v34, 16, v43
	v_mad_u64_u32 v[27:28], s[6:7], s2, v33, 0
	v_mad_u64_u32 v[29:30], s[6:7], s2, v34, 0
	ds_read2_b64 v[21:24], v6 offset0:8 offset1:16
	ds_read_b64 v[5:6], v5
	v_add3_u32 v4, v4, v31, v0
	v_mov_b32_e32 v0, v12
	v_mad_u64_u32 v[31:32], s[6:7], s3, v43, v[0:1]
	v_mov_b32_e32 v0, v28
	v_mov_b32_e32 v12, v30
	v_mad_u64_u32 v[32:33], s[6:7], s3, v33, v[0:1]
	v_mad_u64_u32 v[33:34], s[2:3], s3, v34, v[12:13]
	v_lshlrev_b64 v[3:4], 4, v[3:4]
	v_mov_b32_e32 v38, s11
	v_add_co_u32_e32 v0, vcc, s10, v3
	v_addc_co_u32_e32 v12, vcc, v38, v4, vcc
	v_mov_b32_e32 v28, v32
	s_mov_b32 s0, 0xe8584caa
	s_mov_b32 s1, 0x3febb67a
	;; [unrolled: 1-line block ×4, first 2 shown]
	v_mov_b32_e32 v30, v33
	s_waitcnt vmcnt(1) lgkmcnt(1)
	v_mul_f64 v[34:35], v[21:22], v[9:10]
	s_waitcnt vmcnt(0)
	v_mul_f64 v[36:37], v[23:24], v[19:20]
	v_mul_f64 v[9:10], v[13:14], v[9:10]
	;; [unrolled: 1-line block ×3, first 2 shown]
	v_fma_f64 v[3:4], v[13:14], v[7:8], -v[34:35]
	v_fma_f64 v[13:14], v[15:16], v[17:18], -v[36:37]
	v_fma_f64 v[7:8], v[7:8], v[21:22], v[9:10]
	v_fma_f64 v[9:10], v[17:18], v[23:24], v[19:20]
	v_add_co_u32_e32 v34, vcc, v0, v25
	v_addc_co_u32_e32 v35, vcc, v12, v26, vcc
	v_lshlrev_b64 v[19:20], 4, v[27:28]
	v_add_f64 v[17:18], v[3:4], v[13:14]
	s_waitcnt lgkmcnt(0)
	v_add_f64 v[25:26], v[7:8], v[5:6]
	v_add_f64 v[15:16], v[7:8], v[9:10]
	v_add_f64 v[27:28], v[7:8], -v[9:10]
	v_add_f64 v[7:8], v[1:2], v[3:4]
	v_add_f64 v[23:24], v[3:4], -v[13:14]
	v_mov_b32_e32 v12, v31
	v_lshlrev_b64 v[11:12], 4, v[11:12]
	v_lshlrev_b64 v[21:22], 4, v[29:30]
	v_fma_f64 v[4:5], v[15:16], -0.5, v[5:6]
	v_fma_f64 v[15:16], v[17:18], -0.5, v[1:2]
	v_add_f64 v[2:3], v[25:26], v[9:10]
	v_add_f64 v[0:1], v[7:8], v[13:14]
	v_add_co_u32_e32 v17, vcc, v34, v11
	v_addc_co_u32_e32 v18, vcc, v35, v12, vcc
	v_fma_f64 v[10:11], v[23:24], s[4:5], v[4:5]
	v_fma_f64 v[8:9], v[27:28], s[0:1], v[15:16]
	;; [unrolled: 1-line block ×4, first 2 shown]
	v_add_co_u32_e32 v12, vcc, v34, v19
	v_addc_co_u32_e32 v13, vcc, v35, v20, vcc
	v_add_co_u32_e32 v14, vcc, v34, v21
	v_addc_co_u32_e32 v15, vcc, v35, v22, vcc
	global_store_dwordx4 v[17:18], v[0:3], off
	global_store_dwordx4 v[12:13], v[8:11], off
	;; [unrolled: 1-line block ×3, first 2 shown]
.LBB0_19:
	s_endpgm
	.section	.rodata,"a",@progbits
	.p2align	6, 0x0
	.amdhsa_kernel fft_rtc_fwd_len24_factors_8_3_wgs_256_tpt_8_halfLds_dp_op_CI_CI_sbrr_dirReg
		.amdhsa_group_segment_fixed_size 0
		.amdhsa_private_segment_fixed_size 0
		.amdhsa_kernarg_size 104
		.amdhsa_user_sgpr_count 6
		.amdhsa_user_sgpr_private_segment_buffer 1
		.amdhsa_user_sgpr_dispatch_ptr 0
		.amdhsa_user_sgpr_queue_ptr 0
		.amdhsa_user_sgpr_kernarg_segment_ptr 1
		.amdhsa_user_sgpr_dispatch_id 0
		.amdhsa_user_sgpr_flat_scratch_init 0
		.amdhsa_user_sgpr_private_segment_size 0
		.amdhsa_uses_dynamic_stack 0
		.amdhsa_system_sgpr_private_segment_wavefront_offset 0
		.amdhsa_system_sgpr_workgroup_id_x 1
		.amdhsa_system_sgpr_workgroup_id_y 0
		.amdhsa_system_sgpr_workgroup_id_z 0
		.amdhsa_system_sgpr_workgroup_info 0
		.amdhsa_system_vgpr_workitem_id 0
		.amdhsa_next_free_vgpr 56
		.amdhsa_next_free_sgpr 32
		.amdhsa_reserve_vcc 1
		.amdhsa_reserve_flat_scratch 0
		.amdhsa_float_round_mode_32 0
		.amdhsa_float_round_mode_16_64 0
		.amdhsa_float_denorm_mode_32 3
		.amdhsa_float_denorm_mode_16_64 3
		.amdhsa_dx10_clamp 1
		.amdhsa_ieee_mode 1
		.amdhsa_fp16_overflow 0
		.amdhsa_exception_fp_ieee_invalid_op 0
		.amdhsa_exception_fp_denorm_src 0
		.amdhsa_exception_fp_ieee_div_zero 0
		.amdhsa_exception_fp_ieee_overflow 0
		.amdhsa_exception_fp_ieee_underflow 0
		.amdhsa_exception_fp_ieee_inexact 0
		.amdhsa_exception_int_div_zero 0
	.end_amdhsa_kernel
	.text
.Lfunc_end0:
	.size	fft_rtc_fwd_len24_factors_8_3_wgs_256_tpt_8_halfLds_dp_op_CI_CI_sbrr_dirReg, .Lfunc_end0-fft_rtc_fwd_len24_factors_8_3_wgs_256_tpt_8_halfLds_dp_op_CI_CI_sbrr_dirReg
                                        ; -- End function
	.section	.AMDGPU.csdata,"",@progbits
; Kernel info:
; codeLenInByte = 2892
; NumSgprs: 36
; NumVgprs: 56
; ScratchSize: 0
; MemoryBound: 1
; FloatMode: 240
; IeeeMode: 1
; LDSByteSize: 0 bytes/workgroup (compile time only)
; SGPRBlocks: 4
; VGPRBlocks: 13
; NumSGPRsForWavesPerEU: 36
; NumVGPRsForWavesPerEU: 56
; Occupancy: 4
; WaveLimiterHint : 1
; COMPUTE_PGM_RSRC2:SCRATCH_EN: 0
; COMPUTE_PGM_RSRC2:USER_SGPR: 6
; COMPUTE_PGM_RSRC2:TRAP_HANDLER: 0
; COMPUTE_PGM_RSRC2:TGID_X_EN: 1
; COMPUTE_PGM_RSRC2:TGID_Y_EN: 0
; COMPUTE_PGM_RSRC2:TGID_Z_EN: 0
; COMPUTE_PGM_RSRC2:TIDIG_COMP_CNT: 0
	.type	__hip_cuid_2175ba9e1a7dadf8,@object ; @__hip_cuid_2175ba9e1a7dadf8
	.section	.bss,"aw",@nobits
	.globl	__hip_cuid_2175ba9e1a7dadf8
__hip_cuid_2175ba9e1a7dadf8:
	.byte	0                               ; 0x0
	.size	__hip_cuid_2175ba9e1a7dadf8, 1

	.ident	"AMD clang version 19.0.0git (https://github.com/RadeonOpenCompute/llvm-project roc-6.4.0 25133 c7fe45cf4b819c5991fe208aaa96edf142730f1d)"
	.section	".note.GNU-stack","",@progbits
	.addrsig
	.addrsig_sym __hip_cuid_2175ba9e1a7dadf8
	.amdgpu_metadata
---
amdhsa.kernels:
  - .args:
      - .actual_access:  read_only
        .address_space:  global
        .offset:         0
        .size:           8
        .value_kind:     global_buffer
      - .offset:         8
        .size:           8
        .value_kind:     by_value
      - .actual_access:  read_only
        .address_space:  global
        .offset:         16
        .size:           8
        .value_kind:     global_buffer
      - .actual_access:  read_only
        .address_space:  global
        .offset:         24
        .size:           8
        .value_kind:     global_buffer
      - .actual_access:  read_only
        .address_space:  global
        .offset:         32
        .size:           8
        .value_kind:     global_buffer
      - .offset:         40
        .size:           8
        .value_kind:     by_value
      - .actual_access:  read_only
        .address_space:  global
        .offset:         48
        .size:           8
        .value_kind:     global_buffer
      - .actual_access:  read_only
        .address_space:  global
        .offset:         56
        .size:           8
        .value_kind:     global_buffer
      - .offset:         64
        .size:           4
        .value_kind:     by_value
      - .actual_access:  read_only
        .address_space:  global
        .offset:         72
        .size:           8
        .value_kind:     global_buffer
      - .actual_access:  read_only
        .address_space:  global
        .offset:         80
        .size:           8
        .value_kind:     global_buffer
      - .actual_access:  read_only
        .address_space:  global
        .offset:         88
        .size:           8
        .value_kind:     global_buffer
      - .actual_access:  write_only
        .address_space:  global
        .offset:         96
        .size:           8
        .value_kind:     global_buffer
    .group_segment_fixed_size: 0
    .kernarg_segment_align: 8
    .kernarg_segment_size: 104
    .language:       OpenCL C
    .language_version:
      - 2
      - 0
    .max_flat_workgroup_size: 256
    .name:           fft_rtc_fwd_len24_factors_8_3_wgs_256_tpt_8_halfLds_dp_op_CI_CI_sbrr_dirReg
    .private_segment_fixed_size: 0
    .sgpr_count:     36
    .sgpr_spill_count: 0
    .symbol:         fft_rtc_fwd_len24_factors_8_3_wgs_256_tpt_8_halfLds_dp_op_CI_CI_sbrr_dirReg.kd
    .uniform_work_group_size: 1
    .uses_dynamic_stack: false
    .vgpr_count:     56
    .vgpr_spill_count: 0
    .wavefront_size: 64
amdhsa.target:   amdgcn-amd-amdhsa--gfx906
amdhsa.version:
  - 1
  - 2
...

	.end_amdgpu_metadata
